;; amdgpu-corpus repo=ROCm/rocFFT kind=compiled arch=gfx1201 opt=O3
	.text
	.amdgcn_target "amdgcn-amd-amdhsa--gfx1201"
	.amdhsa_code_object_version 6
	.protected	fft_rtc_fwd_len126_factors_6_7_3_wgs_252_tpt_42_dp_ip_CI_unitstride_sbrr_C2R_dirReg ; -- Begin function fft_rtc_fwd_len126_factors_6_7_3_wgs_252_tpt_42_dp_ip_CI_unitstride_sbrr_C2R_dirReg
	.globl	fft_rtc_fwd_len126_factors_6_7_3_wgs_252_tpt_42_dp_ip_CI_unitstride_sbrr_C2R_dirReg
	.p2align	8
	.type	fft_rtc_fwd_len126_factors_6_7_3_wgs_252_tpt_42_dp_ip_CI_unitstride_sbrr_C2R_dirReg,@function
fft_rtc_fwd_len126_factors_6_7_3_wgs_252_tpt_42_dp_ip_CI_unitstride_sbrr_C2R_dirReg: ; @fft_rtc_fwd_len126_factors_6_7_3_wgs_252_tpt_42_dp_ip_CI_unitstride_sbrr_C2R_dirReg
; %bb.0:
	s_load_b128 s[4:7], s[0:1], 0x0
	v_mul_u32_u24_e32 v1, 0x619, v0
	s_clause 0x1
	s_load_b64 s[8:9], s[0:1], 0x50
	s_load_b64 s[10:11], s[0:1], 0x18
	v_mov_b32_e32 v5, 0
	v_lshrrev_b32_e32 v1, 16, v1
	s_delay_alu instid0(VALU_DEP_1) | instskip(SKIP_3) | instid1(VALU_DEP_1)
	v_mad_co_u64_u32 v[1:2], null, ttmp9, 6, v[1:2]
	v_mov_b32_e32 v3, 0
	v_mov_b32_e32 v4, 0
	;; [unrolled: 1-line block ×4, first 2 shown]
	s_wait_kmcnt 0x0
	v_cmp_lt_u64_e64 s2, s[6:7], 2
	v_mov_b32_e32 v9, v1
	s_delay_alu instid0(VALU_DEP_2)
	s_and_b32 vcc_lo, exec_lo, s2
	s_cbranch_vccnz .LBB0_8
; %bb.1:
	s_load_b64 s[2:3], s[0:1], 0x10
	v_dual_mov_b32 v3, 0 :: v_dual_mov_b32 v8, v2
	v_dual_mov_b32 v4, 0 :: v_dual_mov_b32 v7, v1
	s_add_nc_u64 s[12:13], s[10:11], 8
	s_mov_b64 s[14:15], 1
	s_wait_kmcnt 0x0
	s_add_nc_u64 s[16:17], s[2:3], 8
	s_mov_b32 s3, 0
.LBB0_2:                                ; =>This Inner Loop Header: Depth=1
	s_load_b64 s[18:19], s[16:17], 0x0
                                        ; implicit-def: $vgpr9_vgpr10
	s_mov_b32 s2, exec_lo
	s_wait_kmcnt 0x0
	v_or_b32_e32 v6, s19, v8
	s_delay_alu instid0(VALU_DEP_1)
	v_cmpx_ne_u64_e32 0, v[5:6]
	s_wait_alu 0xfffe
	s_xor_b32 s20, exec_lo, s2
	s_cbranch_execz .LBB0_4
; %bb.3:                                ;   in Loop: Header=BB0_2 Depth=1
	s_cvt_f32_u32 s2, s18
	s_cvt_f32_u32 s21, s19
	s_sub_nc_u64 s[24:25], 0, s[18:19]
	s_wait_alu 0xfffe
	s_delay_alu instid0(SALU_CYCLE_1) | instskip(SKIP_1) | instid1(SALU_CYCLE_2)
	s_fmamk_f32 s2, s21, 0x4f800000, s2
	s_wait_alu 0xfffe
	v_s_rcp_f32 s2, s2
	s_delay_alu instid0(TRANS32_DEP_1) | instskip(SKIP_1) | instid1(SALU_CYCLE_2)
	s_mul_f32 s2, s2, 0x5f7ffffc
	s_wait_alu 0xfffe
	s_mul_f32 s21, s2, 0x2f800000
	s_wait_alu 0xfffe
	s_delay_alu instid0(SALU_CYCLE_2) | instskip(SKIP_1) | instid1(SALU_CYCLE_2)
	s_trunc_f32 s21, s21
	s_wait_alu 0xfffe
	s_fmamk_f32 s2, s21, 0xcf800000, s2
	s_cvt_u32_f32 s23, s21
	s_wait_alu 0xfffe
	s_delay_alu instid0(SALU_CYCLE_1) | instskip(SKIP_1) | instid1(SALU_CYCLE_2)
	s_cvt_u32_f32 s22, s2
	s_wait_alu 0xfffe
	s_mul_u64 s[26:27], s[24:25], s[22:23]
	s_wait_alu 0xfffe
	s_mul_hi_u32 s29, s22, s27
	s_mul_i32 s28, s22, s27
	s_mul_hi_u32 s2, s22, s26
	s_mul_i32 s30, s23, s26
	s_wait_alu 0xfffe
	s_add_nc_u64 s[28:29], s[2:3], s[28:29]
	s_mul_hi_u32 s21, s23, s26
	s_mul_hi_u32 s31, s23, s27
	s_add_co_u32 s2, s28, s30
	s_wait_alu 0xfffe
	s_add_co_ci_u32 s2, s29, s21
	s_mul_i32 s26, s23, s27
	s_add_co_ci_u32 s27, s31, 0
	s_wait_alu 0xfffe
	s_add_nc_u64 s[26:27], s[2:3], s[26:27]
	s_wait_alu 0xfffe
	v_add_co_u32 v2, s2, s22, s26
	s_delay_alu instid0(VALU_DEP_1) | instskip(SKIP_1) | instid1(VALU_DEP_1)
	s_cmp_lg_u32 s2, 0
	s_add_co_ci_u32 s23, s23, s27
	v_readfirstlane_b32 s22, v2
	s_wait_alu 0xfffe
	s_delay_alu instid0(VALU_DEP_1)
	s_mul_u64 s[24:25], s[24:25], s[22:23]
	s_wait_alu 0xfffe
	s_mul_hi_u32 s27, s22, s25
	s_mul_i32 s26, s22, s25
	s_mul_hi_u32 s2, s22, s24
	s_mul_i32 s28, s23, s24
	s_wait_alu 0xfffe
	s_add_nc_u64 s[26:27], s[2:3], s[26:27]
	s_mul_hi_u32 s21, s23, s24
	s_mul_hi_u32 s22, s23, s25
	s_wait_alu 0xfffe
	s_add_co_u32 s2, s26, s28
	s_add_co_ci_u32 s2, s27, s21
	s_mul_i32 s24, s23, s25
	s_add_co_ci_u32 s25, s22, 0
	s_wait_alu 0xfffe
	s_add_nc_u64 s[24:25], s[2:3], s[24:25]
	s_wait_alu 0xfffe
	v_add_co_u32 v2, s2, v2, s24
	s_delay_alu instid0(VALU_DEP_1) | instskip(SKIP_1) | instid1(VALU_DEP_1)
	s_cmp_lg_u32 s2, 0
	s_add_co_ci_u32 s2, s23, s25
	v_mul_hi_u32 v6, v7, v2
	s_wait_alu 0xfffe
	v_mad_co_u64_u32 v[9:10], null, v7, s2, 0
	v_mad_co_u64_u32 v[11:12], null, v8, v2, 0
	;; [unrolled: 1-line block ×3, first 2 shown]
	s_delay_alu instid0(VALU_DEP_3) | instskip(SKIP_1) | instid1(VALU_DEP_4)
	v_add_co_u32 v2, vcc_lo, v6, v9
	s_wait_alu 0xfffd
	v_add_co_ci_u32_e32 v6, vcc_lo, 0, v10, vcc_lo
	s_delay_alu instid0(VALU_DEP_2) | instskip(SKIP_1) | instid1(VALU_DEP_2)
	v_add_co_u32 v2, vcc_lo, v2, v11
	s_wait_alu 0xfffd
	v_add_co_ci_u32_e32 v2, vcc_lo, v6, v12, vcc_lo
	s_wait_alu 0xfffd
	v_add_co_ci_u32_e32 v6, vcc_lo, 0, v14, vcc_lo
	s_delay_alu instid0(VALU_DEP_2) | instskip(SKIP_1) | instid1(VALU_DEP_2)
	v_add_co_u32 v2, vcc_lo, v2, v13
	s_wait_alu 0xfffd
	v_add_co_ci_u32_e32 v6, vcc_lo, 0, v6, vcc_lo
	s_delay_alu instid0(VALU_DEP_2) | instskip(SKIP_1) | instid1(VALU_DEP_3)
	v_mul_lo_u32 v11, s19, v2
	v_mad_co_u64_u32 v[9:10], null, s18, v2, 0
	v_mul_lo_u32 v12, s18, v6
	s_delay_alu instid0(VALU_DEP_2) | instskip(NEXT) | instid1(VALU_DEP_2)
	v_sub_co_u32 v9, vcc_lo, v7, v9
	v_add3_u32 v10, v10, v12, v11
	s_delay_alu instid0(VALU_DEP_1) | instskip(SKIP_1) | instid1(VALU_DEP_1)
	v_sub_nc_u32_e32 v11, v8, v10
	s_wait_alu 0xfffd
	v_subrev_co_ci_u32_e64 v11, s2, s19, v11, vcc_lo
	v_add_co_u32 v12, s2, v2, 2
	s_wait_alu 0xf1ff
	v_add_co_ci_u32_e64 v13, s2, 0, v6, s2
	v_sub_co_u32 v14, s2, v9, s18
	v_sub_co_ci_u32_e32 v10, vcc_lo, v8, v10, vcc_lo
	s_wait_alu 0xf1ff
	v_subrev_co_ci_u32_e64 v11, s2, 0, v11, s2
	s_delay_alu instid0(VALU_DEP_3) | instskip(NEXT) | instid1(VALU_DEP_3)
	v_cmp_le_u32_e32 vcc_lo, s18, v14
	v_cmp_eq_u32_e64 s2, s19, v10
	s_wait_alu 0xfffd
	v_cndmask_b32_e64 v14, 0, -1, vcc_lo
	v_cmp_le_u32_e32 vcc_lo, s19, v11
	s_wait_alu 0xfffd
	v_cndmask_b32_e64 v15, 0, -1, vcc_lo
	v_cmp_le_u32_e32 vcc_lo, s18, v9
	;; [unrolled: 3-line block ×3, first 2 shown]
	s_wait_alu 0xfffd
	v_cndmask_b32_e64 v16, 0, -1, vcc_lo
	v_cmp_eq_u32_e32 vcc_lo, s19, v11
	s_wait_alu 0xf1ff
	s_delay_alu instid0(VALU_DEP_2)
	v_cndmask_b32_e64 v9, v16, v9, s2
	s_wait_alu 0xfffd
	v_cndmask_b32_e32 v11, v15, v14, vcc_lo
	v_add_co_u32 v14, vcc_lo, v2, 1
	s_wait_alu 0xfffd
	v_add_co_ci_u32_e32 v15, vcc_lo, 0, v6, vcc_lo
	s_delay_alu instid0(VALU_DEP_3) | instskip(SKIP_1) | instid1(VALU_DEP_2)
	v_cmp_ne_u32_e32 vcc_lo, 0, v11
	s_wait_alu 0xfffd
	v_dual_cndmask_b32 v10, v15, v13 :: v_dual_cndmask_b32 v11, v14, v12
	v_cmp_ne_u32_e32 vcc_lo, 0, v9
	s_wait_alu 0xfffd
	s_delay_alu instid0(VALU_DEP_2) | instskip(NEXT) | instid1(VALU_DEP_3)
	v_cndmask_b32_e32 v10, v6, v10, vcc_lo
	v_cndmask_b32_e32 v9, v2, v11, vcc_lo
.LBB0_4:                                ;   in Loop: Header=BB0_2 Depth=1
	s_wait_alu 0xfffe
	s_and_not1_saveexec_b32 s2, s20
	s_cbranch_execz .LBB0_6
; %bb.5:                                ;   in Loop: Header=BB0_2 Depth=1
	v_cvt_f32_u32_e32 v2, s18
	s_sub_co_i32 s20, 0, s18
	s_delay_alu instid0(VALU_DEP_1) | instskip(NEXT) | instid1(TRANS32_DEP_1)
	v_rcp_iflag_f32_e32 v2, v2
	v_mul_f32_e32 v2, 0x4f7ffffe, v2
	s_delay_alu instid0(VALU_DEP_1) | instskip(SKIP_1) | instid1(VALU_DEP_1)
	v_cvt_u32_f32_e32 v2, v2
	s_wait_alu 0xfffe
	v_mul_lo_u32 v6, s20, v2
	s_delay_alu instid0(VALU_DEP_1) | instskip(NEXT) | instid1(VALU_DEP_1)
	v_mul_hi_u32 v6, v2, v6
	v_add_nc_u32_e32 v2, v2, v6
	s_delay_alu instid0(VALU_DEP_1) | instskip(NEXT) | instid1(VALU_DEP_1)
	v_mul_hi_u32 v2, v7, v2
	v_mul_lo_u32 v6, v2, s18
	v_add_nc_u32_e32 v9, 1, v2
	s_delay_alu instid0(VALU_DEP_2) | instskip(NEXT) | instid1(VALU_DEP_1)
	v_sub_nc_u32_e32 v6, v7, v6
	v_subrev_nc_u32_e32 v10, s18, v6
	v_cmp_le_u32_e32 vcc_lo, s18, v6
	s_wait_alu 0xfffd
	s_delay_alu instid0(VALU_DEP_2) | instskip(SKIP_2) | instid1(VALU_DEP_3)
	v_cndmask_b32_e32 v6, v6, v10, vcc_lo
	v_mov_b32_e32 v10, v5
	v_cndmask_b32_e32 v2, v2, v9, vcc_lo
	v_cmp_le_u32_e32 vcc_lo, s18, v6
	s_delay_alu instid0(VALU_DEP_2) | instskip(SKIP_1) | instid1(VALU_DEP_1)
	v_add_nc_u32_e32 v9, 1, v2
	s_wait_alu 0xfffd
	v_cndmask_b32_e32 v9, v2, v9, vcc_lo
.LBB0_6:                                ;   in Loop: Header=BB0_2 Depth=1
	s_wait_alu 0xfffe
	s_or_b32 exec_lo, exec_lo, s2
	s_load_b64 s[20:21], s[12:13], 0x0
	v_mul_lo_u32 v2, v10, s18
	v_mul_lo_u32 v6, v9, s19
	v_mad_co_u64_u32 v[11:12], null, v9, s18, 0
	s_add_nc_u64 s[14:15], s[14:15], 1
	s_add_nc_u64 s[12:13], s[12:13], 8
	s_wait_alu 0xfffe
	v_cmp_ge_u64_e64 s2, s[14:15], s[6:7]
	s_add_nc_u64 s[16:17], s[16:17], 8
	s_delay_alu instid0(VALU_DEP_2) | instskip(NEXT) | instid1(VALU_DEP_3)
	v_add3_u32 v2, v12, v6, v2
	v_sub_co_u32 v6, vcc_lo, v7, v11
	s_wait_alu 0xfffd
	s_delay_alu instid0(VALU_DEP_2) | instskip(SKIP_3) | instid1(VALU_DEP_2)
	v_sub_co_ci_u32_e32 v2, vcc_lo, v8, v2, vcc_lo
	s_and_b32 vcc_lo, exec_lo, s2
	s_wait_kmcnt 0x0
	v_mul_lo_u32 v7, s21, v6
	v_mul_lo_u32 v2, s20, v2
	v_mad_co_u64_u32 v[3:4], null, s20, v6, v[3:4]
	s_delay_alu instid0(VALU_DEP_1)
	v_add3_u32 v4, v7, v4, v2
	s_wait_alu 0xfffe
	s_cbranch_vccnz .LBB0_8
; %bb.7:                                ;   in Loop: Header=BB0_2 Depth=1
	v_dual_mov_b32 v7, v9 :: v_dual_mov_b32 v8, v10
	s_branch .LBB0_2
.LBB0_8:
	s_lshl_b64 s[2:3], s[6:7], 3
	v_mul_hi_u32 v2, 0xaaaaaaab, v1
	s_wait_alu 0xfffe
	s_add_nc_u64 s[2:3], s[10:11], s[2:3]
	s_load_b64 s[0:1], s[0:1], 0x20
	s_load_b64 s[2:3], s[2:3], 0x0
	v_mul_hi_u32 v5, 0x6186187, v0
	s_delay_alu instid0(VALU_DEP_2) | instskip(NEXT) | instid1(VALU_DEP_2)
	v_lshrrev_b32_e32 v2, 2, v2
	v_mul_u32_u24_e32 v5, 42, v5
	s_delay_alu instid0(VALU_DEP_2) | instskip(NEXT) | instid1(VALU_DEP_2)
	v_mul_lo_u32 v6, v2, 6
	v_sub_nc_u32_e32 v28, v0, v5
	s_delay_alu instid0(VALU_DEP_2)
	v_sub_nc_u32_e32 v1, v1, v6
	s_wait_kmcnt 0x0
	v_cmp_gt_u64_e32 vcc_lo, s[0:1], v[9:10]
	v_mul_lo_u32 v7, s2, v10
	v_mul_lo_u32 v8, s3, v9
	v_mad_co_u64_u32 v[2:3], null, s2, v9, v[3:4]
	v_mul_u32_u24_e32 v4, 0x7f, v1
	s_delay_alu instid0(VALU_DEP_1) | instskip(NEXT) | instid1(VALU_DEP_3)
	v_lshlrev_b32_e32 v34, 4, v4
	v_add3_u32 v3, v8, v3, v7
	s_delay_alu instid0(VALU_DEP_1)
	v_lshlrev_b64_e32 v[30:31], 4, v[2:3]
	s_and_saveexec_b32 s1, vcc_lo
	s_cbranch_execz .LBB0_12
; %bb.9:
	v_mov_b32_e32 v29, 0
	s_delay_alu instid0(VALU_DEP_2) | instskip(SKIP_2) | instid1(VALU_DEP_3)
	v_add_co_u32 v0, s0, s8, v30
	s_wait_alu 0xf1ff
	v_add_co_ci_u32_e64 v1, s0, s9, v31, s0
	v_lshlrev_b64_e32 v[2:3], 4, v[28:29]
	s_mov_b32 s2, exec_lo
	s_delay_alu instid0(VALU_DEP_1) | instskip(SKIP_1) | instid1(VALU_DEP_2)
	v_add_co_u32 v2, s0, v0, v2
	s_wait_alu 0xf1ff
	v_add_co_ci_u32_e64 v3, s0, v1, v3, s0
	s_clause 0x2
	global_load_b128 v[5:8], v[2:3], off
	global_load_b128 v[9:12], v[2:3], off offset:672
	global_load_b128 v[13:16], v[2:3], off offset:1344
	v_lshlrev_b32_e32 v2, 4, v28
	s_delay_alu instid0(VALU_DEP_1)
	v_add3_u32 v2, 0, v34, v2
	s_wait_loadcnt 0x2
	ds_store_b128 v2, v[5:8]
	s_wait_loadcnt 0x1
	ds_store_b128 v2, v[9:12] offset:672
	s_wait_loadcnt 0x0
	ds_store_b128 v2, v[13:16] offset:1344
	v_cmpx_eq_u32_e32 41, v28
	s_cbranch_execz .LBB0_11
; %bb.10:
	global_load_b128 v[5:8], v[0:1], off offset:2016
	v_mov_b32_e32 v28, 41
	s_wait_loadcnt 0x0
	ds_store_b128 v2, v[5:8] offset:1360
.LBB0_11:
	s_wait_alu 0xfffe
	s_or_b32 exec_lo, exec_lo, s2
.LBB0_12:
	s_wait_alu 0xfffe
	s_or_b32 exec_lo, exec_lo, s1
	v_lshl_add_u32 v32, v4, 4, 0
	v_lshlrev_b32_e32 v0, 4, v28
	global_wb scope:SCOPE_SE
	s_wait_dscnt 0x0
	s_barrier_signal -1
	s_barrier_wait -1
	global_inv scope:SCOPE_SE
	v_add_nc_u32_e32 v33, v32, v0
	v_sub_nc_u32_e32 v5, v32, v0
	s_mov_b32 s1, exec_lo
	ds_load_b64 v[2:3], v33
	ds_load_b64 v[6:7], v5 offset:2016
	s_wait_dscnt 0x0
	v_add_f64_e32 v[0:1], v[2:3], v[6:7]
	v_add_f64_e64 v[2:3], v[2:3], -v[6:7]
	v_cmpx_ne_u32_e32 0, v28
	s_wait_alu 0xfffe
	s_xor_b32 s1, exec_lo, s1
	s_cbranch_execnz .LBB0_25
; %bb.13:
	s_wait_alu 0xfffe
	s_and_not1_saveexec_b32 s0, s1
	s_cbranch_execnz .LBB0_26
.LBB0_14:
	s_wait_alu 0xfffe
	s_or_b32 exec_lo, exec_lo, s0
	v_cmp_gt_u32_e64 s0, 21, v28
	s_delay_alu instid0(VALU_DEP_1)
	s_and_saveexec_b32 s2, s0
	s_cbranch_execz .LBB0_16
.LBB0_15:
	v_mov_b32_e32 v29, 0
	s_add_nc_u64 s[6:7], s[4:5], 0x780
	s_delay_alu instid0(VALU_DEP_1) | instskip(SKIP_1) | instid1(VALU_DEP_1)
	v_lshlrev_b64_e32 v[0:1], 4, v[28:29]
	s_wait_alu 0xfffe
	v_add_co_u32 v0, s1, s6, v0
	s_wait_alu 0xf1ff
	s_delay_alu instid0(VALU_DEP_2)
	v_add_co_ci_u32_e64 v1, s1, s7, v1, s1
	global_load_b128 v[0:3], v[0:1], off offset:672
	ds_load_b128 v[6:9], v33 offset:672
	ds_load_b128 v[10:13], v5 offset:1344
	s_wait_dscnt 0x0
	v_add_f64_e32 v[14:15], v[6:7], v[10:11]
	v_add_f64_e32 v[16:17], v[12:13], v[8:9]
	v_add_f64_e64 v[18:19], v[6:7], -v[10:11]
	v_add_f64_e64 v[6:7], v[8:9], -v[12:13]
	s_wait_loadcnt 0x0
	s_delay_alu instid0(VALU_DEP_2) | instskip(NEXT) | instid1(VALU_DEP_2)
	v_fma_f64 v[8:9], v[18:19], v[2:3], v[14:15]
	v_fma_f64 v[10:11], v[16:17], v[2:3], v[6:7]
	v_fma_f64 v[12:13], -v[18:19], v[2:3], v[14:15]
	v_fma_f64 v[2:3], v[16:17], v[2:3], -v[6:7]
	s_delay_alu instid0(VALU_DEP_4) | instskip(NEXT) | instid1(VALU_DEP_4)
	v_fma_f64 v[6:7], -v[16:17], v[0:1], v[8:9]
	v_fma_f64 v[8:9], v[18:19], v[0:1], v[10:11]
	s_delay_alu instid0(VALU_DEP_4) | instskip(NEXT) | instid1(VALU_DEP_4)
	v_fma_f64 v[10:11], v[16:17], v[0:1], v[12:13]
	v_fma_f64 v[12:13], v[18:19], v[0:1], v[2:3]
	ds_store_b128 v33, v[6:9] offset:672
	ds_store_b128 v5, v[10:13] offset:1344
.LBB0_16:
	s_wait_alu 0xfffe
	s_or_b32 exec_lo, exec_lo, s2
	v_lshl_add_u32 v24, v28, 4, 0
	global_wb scope:SCOPE_SE
	s_wait_dscnt 0x0
	s_barrier_signal -1
	s_barrier_wait -1
	global_inv scope:SCOPE_SE
	v_lshl_add_u32 v29, v4, 4, v24
	global_wb scope:SCOPE_SE
	s_barrier_signal -1
	s_barrier_wait -1
	global_inv scope:SCOPE_SE
	ds_load_b128 v[0:3], v29 offset:1008
	ds_load_b128 v[4:7], v29 offset:1680
	;; [unrolled: 1-line block ×3, first 2 shown]
	s_mov_b32 s2, 0xe8584caa
	s_mov_b32 s3, 0x3febb67a
	;; [unrolled: 1-line block ×3, first 2 shown]
	s_wait_alu 0xfffe
	s_mov_b32 s6, s2
	s_wait_dscnt 0x1
	v_add_f64_e32 v[12:13], v[2:3], v[6:7]
	v_add_f64_e32 v[14:15], v[0:1], v[4:5]
	v_add_f64_e64 v[20:21], v[2:3], -v[6:7]
	v_add_f64_e64 v[22:23], v[0:1], -v[4:5]
	s_wait_dscnt 0x0
	v_add_f64_e32 v[0:1], v[8:9], v[0:1]
	v_add_f64_e32 v[2:3], v[10:11], v[2:3]
	v_fma_f64 v[25:26], v[12:13], -0.5, v[10:11]
	v_fma_f64 v[35:36], v[14:15], -0.5, v[8:9]
	ds_load_b128 v[12:15], v29 offset:672
	ds_load_b128 v[16:19], v29 offset:1344
	v_add_f64_e32 v[4:5], v[0:1], v[4:5]
	v_add_f64_e32 v[6:7], v[2:3], v[6:7]
	s_wait_dscnt 0x0
	v_add_f64_e32 v[37:38], v[12:13], v[16:17]
	v_add_f64_e32 v[39:40], v[14:15], v[18:19]
	v_add_f64_e64 v[47:48], v[14:15], -v[18:19]
	v_add_f64_e64 v[10:11], v[12:13], -v[16:17]
	s_wait_alu 0xfffe
	v_fma_f64 v[41:42], v[22:23], s[6:7], v[25:26]
	v_fma_f64 v[43:44], v[20:21], s[6:7], v[35:36]
	;; [unrolled: 1-line block ×4, first 2 shown]
	ds_load_b128 v[20:23], v33
	global_wb scope:SCOPE_SE
	s_wait_dscnt 0x0
	s_barrier_signal -1
	s_barrier_wait -1
	global_inv scope:SCOPE_SE
	v_add_f64_e32 v[45:46], v[20:21], v[12:13]
	v_add_f64_e32 v[14:15], v[22:23], v[14:15]
	v_fma_f64 v[8:9], v[37:38], -0.5, v[20:21]
	v_fma_f64 v[12:13], v[39:40], -0.5, v[22:23]
	v_mul_f64_e32 v[20:21], s[2:3], v[41:42]
	v_mul_f64_e32 v[22:23], -0.5, v[43:44]
	v_mul_f64_e32 v[37:38], s[6:7], v[35:36]
	v_mul_f64_e32 v[39:40], -0.5, v[25:26]
	v_add_f64_e32 v[16:17], v[45:46], v[16:17]
	v_add_f64_e32 v[14:15], v[14:15], v[18:19]
	v_fma_f64 v[18:19], v[47:48], s[2:3], v[8:9]
	v_fma_f64 v[45:46], v[47:48], s[6:7], v[8:9]
	;; [unrolled: 1-line block ×4, first 2 shown]
	v_fma_f64 v[20:21], v[35:36], 0.5, v[20:21]
	v_fma_f64 v[22:23], v[25:26], s[2:3], v[22:23]
	v_fma_f64 v[25:26], v[41:42], 0.5, v[37:38]
	v_fma_f64 v[35:36], v[43:44], s[6:7], v[39:40]
	v_add_f64_e32 v[0:1], v[16:17], v[4:5]
	v_add_f64_e32 v[2:3], v[14:15], v[6:7]
	v_add_f64_e64 v[8:9], v[16:17], -v[4:5]
	v_add_f64_e64 v[10:11], v[14:15], -v[6:7]
	v_add_f64_e32 v[4:5], v[18:19], v[20:21]
	v_add_f64_e32 v[12:13], v[45:46], v[22:23]
	v_add_f64_e32 v[6:7], v[47:48], v[25:26]
	v_add_f64_e32 v[14:15], v[49:50], v[35:36]
	v_add_f64_e64 v[16:17], v[18:19], -v[20:21]
	v_add_f64_e64 v[20:21], v[45:46], -v[22:23]
	;; [unrolled: 1-line block ×4, first 2 shown]
	s_and_saveexec_b32 s1, s0
	s_cbranch_execz .LBB0_18
; %bb.17:
	v_mul_u32_u24_e32 v25, 0x50, v28
	s_delay_alu instid0(VALU_DEP_1)
	v_add3_u32 v24, v24, v25, v34
	ds_store_b128 v24, v[0:3]
	ds_store_b128 v24, v[4:7] offset:16
	ds_store_b128 v24, v[12:15] offset:32
	;; [unrolled: 1-line block ×5, first 2 shown]
.LBB0_18:
	s_wait_alu 0xfffe
	s_or_b32 exec_lo, exec_lo, s1
	v_cmp_gt_u32_e64 s0, 18, v28
	global_wb scope:SCOPE_SE
	s_wait_dscnt 0x0
	s_barrier_signal -1
	s_barrier_wait -1
	global_inv scope:SCOPE_SE
                                        ; implicit-def: $vgpr26_vgpr27
	s_and_saveexec_b32 s1, s0
	s_cbranch_execz .LBB0_20
; %bb.19:
	ds_load_b128 v[0:3], v33
	ds_load_b128 v[4:7], v29 offset:288
	ds_load_b128 v[12:15], v29 offset:576
	;; [unrolled: 1-line block ×6, first 2 shown]
.LBB0_20:
	s_wait_alu 0xfffe
	s_or_b32 exec_lo, exec_lo, s1
	global_wb scope:SCOPE_SE
	s_wait_dscnt 0x0
	s_barrier_signal -1
	s_barrier_wait -1
	global_inv scope:SCOPE_SE
	s_and_saveexec_b32 s1, s0
	s_cbranch_execz .LBB0_22
; %bb.21:
	v_and_b32_e32 v35, 0xff, v28
	s_mov_b32 s2, 0xe976ee23
	s_mov_b32 s3, 0xbfe11646
	;; [unrolled: 1-line block ×4, first 2 shown]
	v_mul_lo_u16 v35, 0xab, v35
	s_mov_b32 s10, 0x429ad128
	s_mov_b32 s11, 0x3febfeb5
	;; [unrolled: 1-line block ×4, first 2 shown]
	v_lshrrev_b16 v71, 10, v35
	s_mov_b32 s12, 0xaaaaaaaa
	s_mov_b32 s13, 0xbff2aaaa
	s_delay_alu instid0(VALU_DEP_1) | instskip(NEXT) | instid1(VALU_DEP_1)
	v_mul_lo_u16 v35, v71, 6
	v_sub_nc_u16 v35, v28, v35
	s_delay_alu instid0(VALU_DEP_1) | instskip(NEXT) | instid1(VALU_DEP_1)
	v_and_b32_e32 v72, 0xff, v35
	v_mul_u32_u24_e32 v35, 6, v72
	s_delay_alu instid0(VALU_DEP_1)
	v_lshlrev_b32_e32 v55, 4, v35
	s_clause 0x5
	global_load_b128 v[35:38], v55, s[4:5] offset:16
	global_load_b128 v[39:42], v55, s[4:5] offset:64
	global_load_b128 v[43:46], v55, s[4:5]
	global_load_b128 v[47:50], v55, s[4:5] offset:80
	global_load_b128 v[51:54], v55, s[4:5] offset:48
	;; [unrolled: 1-line block ×3, first 2 shown]
	s_wait_loadcnt 0x5
	v_mul_f64_e32 v[59:60], v[12:13], v[37:38]
	s_wait_loadcnt 0x4
	v_mul_f64_e32 v[61:62], v[20:21], v[41:42]
	;; [unrolled: 2-line block ×4, first 2 shown]
	v_mul_f64_e32 v[37:38], v[14:15], v[37:38]
	v_mul_f64_e32 v[41:42], v[22:23], v[41:42]
	;; [unrolled: 1-line block ×4, first 2 shown]
	s_wait_loadcnt 0x1
	v_mul_f64_e32 v[67:68], v[18:19], v[53:54]
	s_wait_loadcnt 0x0
	v_mul_f64_e32 v[69:70], v[10:11], v[57:58]
	v_mul_f64_e32 v[57:58], v[8:9], v[57:58]
	;; [unrolled: 1-line block ×3, first 2 shown]
	v_fma_f64 v[14:15], v[14:15], v[35:36], v[59:60]
	v_fma_f64 v[22:23], v[22:23], v[39:40], v[61:62]
	;; [unrolled: 1-line block ×4, first 2 shown]
	v_fma_f64 v[12:13], v[12:13], v[35:36], -v[37:38]
	v_fma_f64 v[20:21], v[20:21], v[39:40], -v[41:42]
	v_fma_f64 v[4:5], v[4:5], v[43:44], -v[45:46]
	v_fma_f64 v[24:25], v[24:25], v[47:48], -v[49:50]
	v_fma_f64 v[16:17], v[16:17], v[51:52], -v[67:68]
	v_fma_f64 v[8:9], v[8:9], v[55:56], -v[69:70]
	v_fma_f64 v[10:11], v[10:11], v[55:56], v[57:58]
	v_fma_f64 v[18:19], v[18:19], v[51:52], v[53:54]
	v_add_f64_e32 v[35:36], v[14:15], v[22:23]
	v_add_f64_e64 v[14:15], v[14:15], -v[22:23]
	v_add_f64_e32 v[37:38], v[6:7], v[26:27]
	v_add_f64_e64 v[6:7], v[6:7], -v[26:27]
	;; [unrolled: 2-line block ×4, first 2 shown]
	v_add_f64_e64 v[43:44], v[16:17], -v[8:9]
	v_add_f64_e32 v[8:9], v[8:9], v[16:17]
	v_add_f64_e32 v[20:21], v[10:11], v[18:19]
	v_add_f64_e64 v[10:11], v[18:19], -v[10:11]
	v_add_f64_e32 v[16:17], v[35:36], v[37:38]
	v_add_f64_e64 v[49:50], v[14:15], -v[6:7]
	;; [unrolled: 2-line block ×3, first 2 shown]
	v_add_f64_e64 v[22:23], v[43:44], -v[12:13]
	v_add_f64_e64 v[45:46], v[41:42], -v[8:9]
	;; [unrolled: 1-line block ×4, first 2 shown]
	v_add_f64_e32 v[12:13], v[43:44], v[12:13]
	v_add_f64_e64 v[43:44], v[4:5], -v[43:44]
	v_add_f64_e64 v[51:52], v[6:7], -v[10:11]
	v_add_f64_e32 v[10:11], v[10:11], v[14:15]
	v_add_f64_e32 v[16:17], v[20:21], v[16:17]
	v_add_f64_e64 v[20:21], v[20:21], -v[35:36]
	v_add_f64_e64 v[35:36], v[35:36], -v[37:38]
	;; [unrolled: 1-line block ×3, first 2 shown]
	v_add_f64_e32 v[18:19], v[8:9], v[18:19]
	v_add_f64_e64 v[8:9], v[8:9], -v[39:40]
	s_wait_alu 0xfffe
	v_mul_f64_e32 v[22:23], s[2:3], v[22:23]
	v_mul_f64_e32 v[39:40], s[6:7], v[45:46]
	;; [unrolled: 1-line block ×4, first 2 shown]
	s_mov_b32 s2, 0x36b3c0b5
	s_mov_b32 s3, 0x3fac98ee
	v_mul_f64_e32 v[41:42], s[10:11], v[47:48]
	v_mul_f64_e32 v[45:46], s[10:11], v[49:50]
	s_mov_b32 s7, 0x3fd5d0dc
	s_mov_b32 s6, 0xb247c609
	v_add_f64_e32 v[4:5], v[12:13], v[4:5]
	v_add_f64_e32 v[6:7], v[10:11], v[6:7]
	v_add_f64_e32 v[2:3], v[2:3], v[16:17]
	s_wait_alu 0xfffe
	v_mul_f64_e32 v[14:15], s[2:3], v[20:21]
	v_add_f64_e32 v[0:1], v[0:1], v[18:19]
	v_mul_f64_e32 v[53:54], s[2:3], v[8:9]
	v_fma_f64 v[12:13], v[43:44], s[6:7], v[22:23]
	v_fma_f64 v[57:58], v[37:38], s[14:15], -v[39:40]
	v_fma_f64 v[20:21], v[20:21], s[2:3], v[24:25]
	v_fma_f64 v[55:56], v[51:52], s[6:7], v[26:27]
	s_mov_b32 s7, 0xbfd5d0dc
	v_fma_f64 v[24:25], v[35:36], s[14:15], -v[24:25]
	s_mov_b32 s15, 0x3fe77f67
	v_fma_f64 v[22:23], v[47:48], s[10:11], -v[22:23]
	s_wait_alu 0xfffe
	v_fma_f64 v[41:42], v[43:44], s[6:7], -v[41:42]
	v_fma_f64 v[8:9], v[8:9], s[2:3], v[39:40]
	s_mov_b32 s2, 0x37c3f68c
	s_mov_b32 s3, 0x3fdc38aa
	v_fma_f64 v[16:17], v[16:17], s[12:13], v[2:3]
	v_fma_f64 v[10:11], v[35:36], s[14:15], -v[14:15]
	v_fma_f64 v[14:15], v[49:50], s[10:11], -v[26:27]
	;; [unrolled: 1-line block ×3, first 2 shown]
	v_fma_f64 v[18:19], v[18:19], s[12:13], v[0:1]
	v_fma_f64 v[35:36], v[37:38], s[14:15], -v[53:54]
	s_wait_alu 0xfffe
	v_fma_f64 v[12:13], v[4:5], s[2:3], v[12:13]
	v_fma_f64 v[37:38], v[6:7], s[2:3], v[55:56]
	;; [unrolled: 1-line block ×4, first 2 shown]
	v_add_f64_e32 v[20:21], v[20:21], v[16:17]
	v_add_f64_e32 v[24:25], v[24:25], v[16:17]
	;; [unrolled: 1-line block ×3, first 2 shown]
	v_fma_f64 v[41:42], v[6:7], s[2:3], v[26:27]
	v_add_f64_e32 v[43:44], v[8:9], v[18:19]
	v_add_f64_e32 v[8:9], v[57:58], v[18:19]
	v_fma_f64 v[39:40], v[6:7], s[2:3], v[14:15]
	v_add_f64_e32 v[35:36], v[35:36], v[18:19]
	v_add_f64_e64 v[26:27], v[20:21], -v[12:13]
	v_add_f64_e32 v[10:11], v[4:5], v[24:25]
	v_add_f64_e64 v[14:15], v[16:17], -v[22:23]
	;; [unrolled: 2-line block ×3, first 2 shown]
	v_add_f64_e32 v[24:25], v[37:38], v[43:44]
	v_add_f64_e32 v[6:7], v[12:13], v[20:21]
	;; [unrolled: 1-line block ×3, first 2 shown]
	v_add_f64_e64 v[16:17], v[35:36], -v[39:40]
	v_add_f64_e32 v[12:13], v[39:40], v[35:36]
	v_add_f64_e64 v[8:9], v[8:9], -v[41:42]
	v_add_f64_e64 v[4:5], v[43:44], -v[37:38]
	v_and_b32_e32 v35, 0xffff, v71
	v_lshlrev_b32_e32 v36, 4, v72
	s_delay_alu instid0(VALU_DEP_2) | instskip(NEXT) | instid1(VALU_DEP_1)
	v_mad_u32_u24 v35, 0x2a0, v35, 0
	v_add3_u32 v34, v35, v36, v34
	ds_store_b128 v34, v[0:3]
	ds_store_b128 v34, v[24:27] offset:96
	ds_store_b128 v34, v[20:23] offset:192
	;; [unrolled: 1-line block ×6, first 2 shown]
.LBB0_22:
	s_wait_alu 0xfffe
	s_or_b32 exec_lo, exec_lo, s1
	v_dual_mov_b32 v1, 0 :: v_dual_lshlrev_b32 v0, 1, v28
	global_wb scope:SCOPE_SE
	s_wait_dscnt 0x0
	s_barrier_signal -1
	s_barrier_wait -1
	global_inv scope:SCOPE_SE
	v_lshlrev_b64_e32 v[2:3], 4, v[0:1]
	s_mov_b32 s3, 0xbfebb67a
	s_delay_alu instid0(VALU_DEP_1) | instskip(SKIP_1) | instid1(VALU_DEP_2)
	v_add_co_u32 v6, s0, s4, v2
	s_wait_alu 0xf1ff
	v_add_co_ci_u32_e64 v7, s0, s5, v3, s0
	s_mov_b32 s0, 0xe8584caa
	s_mov_b32 s1, 0x3febb67a
	s_clause 0x1
	global_load_b128 v[2:5], v[6:7], off offset:576
	global_load_b128 v[6:9], v[6:7], off offset:592
	ds_load_b128 v[10:13], v29 offset:672
	ds_load_b128 v[14:17], v29 offset:1344
	s_wait_alu 0xfffe
	s_mov_b32 s2, s0
	s_wait_loadcnt_dscnt 0x101
	v_mul_f64_e32 v[18:19], v[12:13], v[4:5]
	s_wait_loadcnt_dscnt 0x0
	v_mul_f64_e32 v[20:21], v[16:17], v[8:9]
	v_mul_f64_e32 v[4:5], v[10:11], v[4:5]
	;; [unrolled: 1-line block ×3, first 2 shown]
	s_delay_alu instid0(VALU_DEP_4) | instskip(NEXT) | instid1(VALU_DEP_4)
	v_fma_f64 v[10:11], v[10:11], v[2:3], -v[18:19]
	v_fma_f64 v[14:15], v[14:15], v[6:7], -v[20:21]
	s_delay_alu instid0(VALU_DEP_4) | instskip(NEXT) | instid1(VALU_DEP_4)
	v_fma_f64 v[12:13], v[12:13], v[2:3], v[4:5]
	v_fma_f64 v[6:7], v[16:17], v[6:7], v[8:9]
	ds_load_b128 v[2:5], v33
	global_wb scope:SCOPE_SE
	s_wait_dscnt 0x0
	s_barrier_signal -1
	s_barrier_wait -1
	global_inv scope:SCOPE_SE
	v_add_f64_e32 v[18:19], v[2:3], v[10:11]
	v_add_f64_e32 v[8:9], v[10:11], v[14:15]
	v_add_f64_e64 v[22:23], v[10:11], -v[14:15]
	v_add_f64_e32 v[16:17], v[12:13], v[6:7]
	v_add_f64_e64 v[20:21], v[12:13], -v[6:7]
	v_add_f64_e32 v[12:13], v[4:5], v[12:13]
	v_fma_f64 v[8:9], v[8:9], -0.5, v[2:3]
	v_add_f64_e32 v[2:3], v[18:19], v[14:15]
	v_fma_f64 v[16:17], v[16:17], -0.5, v[4:5]
	s_delay_alu instid0(VALU_DEP_4) | instskip(NEXT) | instid1(VALU_DEP_4)
	v_add_f64_e32 v[4:5], v[12:13], v[6:7]
	v_fma_f64 v[6:7], v[20:21], s[0:1], v[8:9]
	s_wait_alu 0xfffe
	v_fma_f64 v[10:11], v[20:21], s[2:3], v[8:9]
	s_delay_alu instid0(VALU_DEP_4)
	v_fma_f64 v[8:9], v[22:23], s[2:3], v[16:17]
	v_fma_f64 v[12:13], v[22:23], s[0:1], v[16:17]
	ds_store_b128 v29, v[2:5]
	ds_store_b128 v29, v[6:9] offset:672
	ds_store_b128 v29, v[10:13] offset:1344
	global_wb scope:SCOPE_SE
	s_wait_dscnt 0x0
	s_barrier_signal -1
	s_barrier_wait -1
	global_inv scope:SCOPE_SE
	s_and_saveexec_b32 s0, vcc_lo
	s_cbranch_execz .LBB0_24
; %bb.23:
	v_lshl_add_u32 v10, v28, 4, v32
	v_dual_mov_b32 v29, v1 :: v_dual_add_nc_u32 v0, 42, v28
	v_add_co_u32 v18, vcc_lo, s8, v30
	ds_load_b128 v[2:5], v10
	ds_load_b128 v[6:9], v10 offset:672
	ds_load_b128 v[10:13], v10 offset:1344
	v_lshlrev_b64_e32 v[14:15], 4, v[28:29]
	v_lshlrev_b64_e32 v[16:17], 4, v[0:1]
	v_add_nc_u32_e32 v0, 0x54, v28
	s_wait_alu 0xfffd
	v_add_co_ci_u32_e32 v19, vcc_lo, s9, v31, vcc_lo
	s_delay_alu instid0(VALU_DEP_4) | instskip(NEXT) | instid1(VALU_DEP_3)
	v_add_co_u32 v14, vcc_lo, v18, v14
	v_lshlrev_b64_e32 v[0:1], 4, v[0:1]
	s_wait_alu 0xfffd
	s_delay_alu instid0(VALU_DEP_3)
	v_add_co_ci_u32_e32 v15, vcc_lo, v19, v15, vcc_lo
	v_add_co_u32 v16, vcc_lo, v18, v16
	s_wait_alu 0xfffd
	v_add_co_ci_u32_e32 v17, vcc_lo, v19, v17, vcc_lo
	v_add_co_u32 v0, vcc_lo, v18, v0
	s_wait_alu 0xfffd
	v_add_co_ci_u32_e32 v1, vcc_lo, v19, v1, vcc_lo
	s_wait_dscnt 0x2
	global_store_b128 v[14:15], v[2:5], off
	s_wait_dscnt 0x1
	global_store_b128 v[16:17], v[6:9], off
	s_wait_dscnt 0x0
	global_store_b128 v[0:1], v[10:13], off
.LBB0_24:
	s_nop 0
	s_sendmsg sendmsg(MSG_DEALLOC_VGPRS)
	s_endpgm
.LBB0_25:
	v_mov_b32_e32 v29, 0
	s_delay_alu instid0(VALU_DEP_1) | instskip(NEXT) | instid1(VALU_DEP_1)
	v_lshlrev_b64_e32 v[6:7], 4, v[28:29]
	v_add_co_u32 v6, s0, s4, v6
	s_wait_alu 0xf1ff
	s_delay_alu instid0(VALU_DEP_2)
	v_add_co_ci_u32_e64 v7, s0, s5, v7, s0
	global_load_b128 v[6:9], v[6:7], off offset:1920
	ds_load_b64 v[10:11], v5 offset:2024
	ds_load_b64 v[12:13], v33 offset:8
	s_wait_dscnt 0x0
	v_add_f64_e32 v[14:15], v[10:11], v[12:13]
	v_add_f64_e64 v[10:11], v[12:13], -v[10:11]
	s_wait_loadcnt 0x0
	v_fma_f64 v[12:13], v[2:3], v[8:9], v[0:1]
	s_delay_alu instid0(VALU_DEP_2) | instskip(SKIP_2) | instid1(VALU_DEP_4)
	v_fma_f64 v[16:17], v[14:15], v[8:9], v[10:11]
	v_fma_f64 v[0:1], -v[2:3], v[8:9], v[0:1]
	v_fma_f64 v[18:19], v[14:15], v[8:9], -v[10:11]
	v_fma_f64 v[8:9], -v[14:15], v[6:7], v[12:13]
	s_delay_alu instid0(VALU_DEP_4) | instskip(NEXT) | instid1(VALU_DEP_4)
	v_fma_f64 v[10:11], v[2:3], v[6:7], v[16:17]
	v_fma_f64 v[0:1], v[14:15], v[6:7], v[0:1]
	s_delay_alu instid0(VALU_DEP_4)
	v_fma_f64 v[2:3], v[2:3], v[6:7], v[18:19]
	ds_store_b128 v33, v[8:11]
	ds_store_b128 v5, v[0:3] offset:2016
                                        ; implicit-def: $vgpr0_vgpr1
	s_wait_alu 0xfffe
	s_and_not1_saveexec_b32 s0, s1
	s_cbranch_execz .LBB0_14
.LBB0_26:
	ds_store_b128 v33, v[0:3]
	ds_load_b128 v[0:3], v32 offset:1008
	s_wait_dscnt 0x0
	v_add_f64_e32 v[0:1], v[0:1], v[0:1]
	v_mul_f64_e32 v[2:3], -2.0, v[2:3]
	ds_store_b128 v32, v[0:3] offset:1008
	s_wait_alu 0xfffe
	s_or_b32 exec_lo, exec_lo, s0
	v_cmp_gt_u32_e64 s0, 21, v28
	s_delay_alu instid0(VALU_DEP_1)
	s_and_saveexec_b32 s2, s0
	s_cbranch_execnz .LBB0_15
	s_branch .LBB0_16
	.section	.rodata,"a",@progbits
	.p2align	6, 0x0
	.amdhsa_kernel fft_rtc_fwd_len126_factors_6_7_3_wgs_252_tpt_42_dp_ip_CI_unitstride_sbrr_C2R_dirReg
		.amdhsa_group_segment_fixed_size 0
		.amdhsa_private_segment_fixed_size 0
		.amdhsa_kernarg_size 88
		.amdhsa_user_sgpr_count 2
		.amdhsa_user_sgpr_dispatch_ptr 0
		.amdhsa_user_sgpr_queue_ptr 0
		.amdhsa_user_sgpr_kernarg_segment_ptr 1
		.amdhsa_user_sgpr_dispatch_id 0
		.amdhsa_user_sgpr_private_segment_size 0
		.amdhsa_wavefront_size32 1
		.amdhsa_uses_dynamic_stack 0
		.amdhsa_enable_private_segment 0
		.amdhsa_system_sgpr_workgroup_id_x 1
		.amdhsa_system_sgpr_workgroup_id_y 0
		.amdhsa_system_sgpr_workgroup_id_z 0
		.amdhsa_system_sgpr_workgroup_info 0
		.amdhsa_system_vgpr_workitem_id 0
		.amdhsa_next_free_vgpr 73
		.amdhsa_next_free_sgpr 32
		.amdhsa_reserve_vcc 1
		.amdhsa_float_round_mode_32 0
		.amdhsa_float_round_mode_16_64 0
		.amdhsa_float_denorm_mode_32 3
		.amdhsa_float_denorm_mode_16_64 3
		.amdhsa_fp16_overflow 0
		.amdhsa_workgroup_processor_mode 1
		.amdhsa_memory_ordered 1
		.amdhsa_forward_progress 0
		.amdhsa_round_robin_scheduling 0
		.amdhsa_exception_fp_ieee_invalid_op 0
		.amdhsa_exception_fp_denorm_src 0
		.amdhsa_exception_fp_ieee_div_zero 0
		.amdhsa_exception_fp_ieee_overflow 0
		.amdhsa_exception_fp_ieee_underflow 0
		.amdhsa_exception_fp_ieee_inexact 0
		.amdhsa_exception_int_div_zero 0
	.end_amdhsa_kernel
	.text
.Lfunc_end0:
	.size	fft_rtc_fwd_len126_factors_6_7_3_wgs_252_tpt_42_dp_ip_CI_unitstride_sbrr_C2R_dirReg, .Lfunc_end0-fft_rtc_fwd_len126_factors_6_7_3_wgs_252_tpt_42_dp_ip_CI_unitstride_sbrr_C2R_dirReg
                                        ; -- End function
	.section	.AMDGPU.csdata,"",@progbits
; Kernel info:
; codeLenInByte = 4596
; NumSgprs: 34
; NumVgprs: 73
; ScratchSize: 0
; MemoryBound: 0
; FloatMode: 240
; IeeeMode: 1
; LDSByteSize: 0 bytes/workgroup (compile time only)
; SGPRBlocks: 4
; VGPRBlocks: 9
; NumSGPRsForWavesPerEU: 34
; NumVGPRsForWavesPerEU: 73
; Occupancy: 16
; WaveLimiterHint : 1
; COMPUTE_PGM_RSRC2:SCRATCH_EN: 0
; COMPUTE_PGM_RSRC2:USER_SGPR: 2
; COMPUTE_PGM_RSRC2:TRAP_HANDLER: 0
; COMPUTE_PGM_RSRC2:TGID_X_EN: 1
; COMPUTE_PGM_RSRC2:TGID_Y_EN: 0
; COMPUTE_PGM_RSRC2:TGID_Z_EN: 0
; COMPUTE_PGM_RSRC2:TIDIG_COMP_CNT: 0
	.text
	.p2alignl 7, 3214868480
	.fill 96, 4, 3214868480
	.type	__hip_cuid_b57e3129b4e1d2df,@object ; @__hip_cuid_b57e3129b4e1d2df
	.section	.bss,"aw",@nobits
	.globl	__hip_cuid_b57e3129b4e1d2df
__hip_cuid_b57e3129b4e1d2df:
	.byte	0                               ; 0x0
	.size	__hip_cuid_b57e3129b4e1d2df, 1

	.ident	"AMD clang version 19.0.0git (https://github.com/RadeonOpenCompute/llvm-project roc-6.4.0 25133 c7fe45cf4b819c5991fe208aaa96edf142730f1d)"
	.section	".note.GNU-stack","",@progbits
	.addrsig
	.addrsig_sym __hip_cuid_b57e3129b4e1d2df
	.amdgpu_metadata
---
amdhsa.kernels:
  - .args:
      - .actual_access:  read_only
        .address_space:  global
        .offset:         0
        .size:           8
        .value_kind:     global_buffer
      - .offset:         8
        .size:           8
        .value_kind:     by_value
      - .actual_access:  read_only
        .address_space:  global
        .offset:         16
        .size:           8
        .value_kind:     global_buffer
      - .actual_access:  read_only
        .address_space:  global
        .offset:         24
        .size:           8
        .value_kind:     global_buffer
      - .offset:         32
        .size:           8
        .value_kind:     by_value
      - .actual_access:  read_only
        .address_space:  global
        .offset:         40
        .size:           8
        .value_kind:     global_buffer
      - .actual_access:  read_only
        .address_space:  global
        .offset:         48
        .size:           8
        .value_kind:     global_buffer
      - .offset:         56
        .size:           4
        .value_kind:     by_value
      - .actual_access:  read_only
        .address_space:  global
        .offset:         64
        .size:           8
        .value_kind:     global_buffer
      - .actual_access:  read_only
        .address_space:  global
        .offset:         72
        .size:           8
        .value_kind:     global_buffer
      - .address_space:  global
        .offset:         80
        .size:           8
        .value_kind:     global_buffer
    .group_segment_fixed_size: 0
    .kernarg_segment_align: 8
    .kernarg_segment_size: 88
    .language:       OpenCL C
    .language_version:
      - 2
      - 0
    .max_flat_workgroup_size: 252
    .name:           fft_rtc_fwd_len126_factors_6_7_3_wgs_252_tpt_42_dp_ip_CI_unitstride_sbrr_C2R_dirReg
    .private_segment_fixed_size: 0
    .sgpr_count:     34
    .sgpr_spill_count: 0
    .symbol:         fft_rtc_fwd_len126_factors_6_7_3_wgs_252_tpt_42_dp_ip_CI_unitstride_sbrr_C2R_dirReg.kd
    .uniform_work_group_size: 1
    .uses_dynamic_stack: false
    .vgpr_count:     73
    .vgpr_spill_count: 0
    .wavefront_size: 32
    .workgroup_processor_mode: 1
amdhsa.target:   amdgcn-amd-amdhsa--gfx1201
amdhsa.version:
  - 1
  - 2
...

	.end_amdgpu_metadata
